;; amdgpu-corpus repo=linkedin/Liger-Kernel kind=triton arch=gfx950 opt=O3 lang=triton
	.amdgcn_target "amdgcn-amd-amdhsa--gfx950"
	.amdhsa_code_object_version 5
	.text
	.globl	_poly_norm_forward_kernel       ; -- Begin function _poly_norm_forward_kernel
	.p2align	8
	.type	_poly_norm_forward_kernel,@function
_poly_norm_forward_kernel:              ; @_poly_norm_forward_kernel
.Lfunc_begin0:
	.cfi_sections .debug_frame
	.cfi_startproc
; %bb.21:
	.file	1 "/root/src/amdgpu-assembly/repos/linkedin__Liger-Kernel/triton_aot_kernels" "poly_norm_aot.py"
	.loc	1 10 0 prologue_end             ; poly_norm_aot.py:10:0
	s_load_dwordx2 s[2:3], s[0:1], 0x0
	s_load_dwordx8 s[4:11], s[0:1], 0x8
	s_load_dwordx4 s[12:15], s[0:1], 0x28
	s_waitcnt lgkmcnt(0)
	s_branch .LBB0_0
	.loc	1 0 0 is_stmt 0                 ; :0:0
.Ltmp0:
	.p2align	8
; %bb.22:
.LBB0_0:
	s_load_dword s17, s[0:1], 0x3c
.Ltmp1:
	.loc	1 75 27 is_stmt 1               ; poly_norm_aot.py:75:27
	v_readfirstlane_b32 s22, v0
	.loc	1 35 31                         ; poly_norm_aot.py:35:31
	v_and_b32_e32 v15, 63, v0
	s_and_b32 s5, s22, 0xc0
	v_or_b32_e32 v1, s5, v15
	.loc	1 40 23                         ; poly_norm_aot.py:40:23
	s_mul_hi_i32 s9, s8, s16
	s_mul_i32 s8, s8, s16
	.loc	1 35 31                         ; poly_norm_aot.py:35:31
	v_or_b32_e32 v2, 0x100, v1
	.loc	1 40 13                         ; poly_norm_aot.py:40:13
	s_lshl_b64 s[8:9], s[8:9], 2
	.loc	1 44 20                         ; poly_norm_aot.py:44:20
	v_lshlrev_b32_e32 v3, 2, v1
	v_bfrev_b32_e32 v6, 1
	.loc	1 36 25                         ; poly_norm_aot.py:36:25
	s_waitcnt lgkmcnt(0)
	v_cmp_gt_i32_e32 vcc, s17, v1
	.loc	1 35 31                         ; poly_norm_aot.py:35:31
	v_or_b32_e32 v4, 0x200, v1
	v_or_b32_e32 v5, 0x300, v1
	.loc	1 40 13                         ; poly_norm_aot.py:40:13
	s_add_u32 s24, s6, s8
	.loc	1 44 20                         ; poly_norm_aot.py:44:20
	v_cndmask_b32_e32 v3, v6, v3, vcc
	v_lshlrev_b32_e32 v1, 2, v2
	.loc	1 36 25                         ; poly_norm_aot.py:36:25
	v_cmp_gt_i32_e32 vcc, s17, v2
	.loc	1 40 13                         ; poly_norm_aot.py:40:13
	s_addc_u32 s5, s7, s9
	.loc	1 44 20                         ; poly_norm_aot.py:44:20
	s_and_b32 s25, s5, 0xffff
	v_cndmask_b32_e32 v12, v6, v1, vcc
	v_lshlrev_b32_e32 v1, 2, v4
	.loc	1 36 25                         ; poly_norm_aot.py:36:25
	v_cmp_gt_i32_e32 vcc, s17, v4
	s_mov_b32 s27, 0x27000
	s_mov_b32 s26, 0x7ffffffe
	.loc	1 44 20                         ; poly_norm_aot.py:44:20
	v_cndmask_b32_e32 v13, v6, v1, vcc
	v_lshlrev_b32_e32 v1, 2, v5
	.loc	1 36 25                         ; poly_norm_aot.py:36:25
	v_cmp_gt_i32_e32 vcc, s17, v5
.Ltmp2:
	.file	2 "/root/.local/lib/python3.13/site-packages/triton/language" "standard.py"
	.loc	2 293 36                        ; standard.py:293:36 @[ poly_norm_aot.py:58:27 ]
	s_lshr_b32 s5, s22, 4
	s_and_b32 s5, s5, 12
.Ltmp3:
	.loc	1 44 20                         ; poly_norm_aot.py:44:20
	v_cndmask_b32_e32 v14, v6, v1, vcc
	buffer_load_dword v5, v3, s[24:27], 0 offen
	buffer_load_dword v7, v12, s[24:27], 0 offen
	;; [unrolled: 1-line block ×4, first 2 shown]
.Ltmp4:
	.loc	2 293 36                        ; standard.py:293:36 @[ poly_norm_aot.py:58:27 ]
	v_cmp_eq_u32_e32 vcc, 0, v15
	s_add_i32 s5, s5, 0
.Ltmp5:
	.loc	1 53 21                         ; poly_norm_aot.py:53:21
	s_waitcnt vmcnt(3)
	v_mul_f32_e32 v16, v5, v5
	s_waitcnt vmcnt(2)
	v_mul_f32_e32 v17, v7, v7
	.loc	1 53 29 is_stmt 0               ; poly_norm_aot.py:53:29
	v_mul_f32_e32 v4, v16, v5
	.loc	1 53 21                         ; poly_norm_aot.py:53:21
	s_waitcnt vmcnt(1)
	v_mul_f32_e32 v18, v9, v9
	.loc	1 53 29                         ; poly_norm_aot.py:53:29
	v_mul_f32_e32 v6, v17, v7
.Ltmp6:
	.loc	2 263 15 is_stmt 1              ; standard.py:263:15 @[ standard.py:293:36 @[ poly_norm_aot.py:58:27 ] ]
	v_mul_f32_e32 v1, v4, v4
.Ltmp7:
	.loc	1 53 21                         ; poly_norm_aot.py:53:21
	s_waitcnt vmcnt(0)
	v_mul_f32_e32 v19, v11, v11
	.loc	1 53 29 is_stmt 0               ; poly_norm_aot.py:53:29
	v_mul_f32_e32 v8, v18, v9
.Ltmp8:
	.loc	2 263 15 is_stmt 1              ; standard.py:263:15 @[ standard.py:293:36 @[ poly_norm_aot.py:58:27 ] ]
	v_fmac_f32_e32 v1, v6, v6
.Ltmp9:
	.loc	1 53 29                         ; poly_norm_aot.py:53:29
	v_mul_f32_e32 v10, v19, v11
.Ltmp10:
	.loc	2 263 15                        ; standard.py:263:15 @[ standard.py:293:36 @[ poly_norm_aot.py:58:27 ] ]
	v_fmac_f32_e32 v1, v8, v8
	v_fmac_f32_e32 v1, v10, v10
	s_nop 1
	v_add_f32_dpp v1, v1, v1 row_shr:8 row_mask:0xf bank_mask:0xf bound_ctrl:1
	s_nop 1
	v_add_f32_dpp v1, v1, v1 row_shr:4 row_mask:0xf bank_mask:0xf bound_ctrl:1
	;; [unrolled: 2-line block ×4, first 2 shown]
.Ltmp11:
	.loc	2 293 36                        ; standard.py:293:36 @[ poly_norm_aot.py:58:27 ]
	v_mov_b32_e32 v2, v1
	s_nop 1
	v_mov_b32_dpp v2, v2 row_bcast:15 row_mask:0xa bank_mask:0xf bound_ctrl:1
.Ltmp12:
	.loc	2 263 15                        ; standard.py:263:15 @[ standard.py:293:36 @[ poly_norm_aot.py:58:27 ] ]
	v_add_f32_e32 v1, v2, v1
	s_nop 1
	v_add_f32_dpp v1, v1, v1 row_bcast:31 row_mask:0xf bank_mask:0xf bound_ctrl:1
.Ltmp13:
	.loc	2 293 36                        ; standard.py:293:36 @[ poly_norm_aot.py:58:27 ]
	s_nop 0
	v_readlane_b32 s8, v1, 63
	s_and_saveexec_b64 s[6:7], vcc
; %bb.1:
	v_mov_b32_e32 v1, s5
	v_mov_b32_e32 v2, s8
	ds_write_b32 v1, v2
; %bb.2:
	.loc	2 0 36 is_stmt 0                ; standard.py:0:36
	s_or_b64 exec, exec, s[6:7]
	.loc	2 293 36                        ; standard.py:293:36 @[ poly_norm_aot.py:58:27 ]
	v_cmp_gt_u32_e64 s[6:7], 4, v0
	v_lshl_add_u32 v1, v0, 2, 0
.Ltmp14:
	.loc	1 58 27 is_stmt 1               ; poly_norm_aot.py:58:27
	v_mov_b32_e32 v2, 0
.Ltmp15:
	.loc	2 293 36                        ; standard.py:293:36 @[ poly_norm_aot.py:58:27 ]
	s_waitcnt lgkmcnt(0)
	s_barrier
	s_and_saveexec_b64 s[8:9], s[6:7]
; %bb.3:
	ds_read_b32 v2, v1
; %bb.4:
	.loc	2 0 36 is_stmt 0                ; standard.py:0:36
	s_or_b64 exec, exec, s[8:9]
	.loc	2 293 36                        ; standard.py:293:36 @[ poly_norm_aot.py:58:27 ]
	s_waitcnt lgkmcnt(0)
	v_mov_b32_e32 v20, v2
	v_and_b32_e32 v0, 3, v0
	v_cmp_eq_u32_e64 s[8:9], 0, v0
	v_mov_b32_dpp v20, v20 quad_perm:[2,3,0,1] row_mask:0xf bank_mask:0xf
.Ltmp16:
	.loc	2 263 15 is_stmt 1              ; standard.py:263:15 @[ standard.py:293:36 @[ poly_norm_aot.py:58:27 ] ]
	v_add_f32_e32 v2, v2, v20
.Ltmp17:
	.loc	2 293 36                        ; standard.py:293:36 @[ poly_norm_aot.py:58:27 ]
	v_mov_b32_e32 v20, v2
	s_and_b64 s[18:19], s[6:7], s[8:9]
	s_nop 0
	v_mov_b32_dpp v20, v20 quad_perm:[1,0,3,2] row_mask:0xf bank_mask:0xf
	s_and_saveexec_b64 s[8:9], s[18:19]
; %bb.5:
	.loc	2 0 36 is_stmt 0                ; standard.py:0:36
	v_add_f32_e32 v0, v2, v20
	.loc	2 293 36                        ; standard.py:293:36 @[ poly_norm_aot.py:58:27 ]
	ds_write_b32 v1, v0
.Ltmp18:
; %bb.6:
	.loc	2 0 36                          ; standard.py:0:36
	s_or_b64 exec, exec, s[8:9]
.Ltmp19:
	.loc	2 263 15 is_stmt 1              ; standard.py:263:15 @[ standard.py:293:36 @[ poly_norm_aot.py:63:27 ] ]
	v_mul_f32_e32 v2, v16, v16
	v_fmac_f32_e32 v2, v17, v17
	v_fmac_f32_e32 v2, v18, v18
	;; [unrolled: 1-line block ×3, first 2 shown]
.Ltmp20:
	.loc	2 293 36                        ; standard.py:293:36 @[ poly_norm_aot.py:58:27 ]
	v_mov_b32_e32 v0, 0
	s_waitcnt lgkmcnt(0)
.Ltmp21:
	.loc	2 263 15                        ; standard.py:263:15 @[ standard.py:293:36 @[ poly_norm_aot.py:63:27 ] ]
	v_add_f32_dpp v2, v2, v2 row_shr:8 row_mask:0xf bank_mask:0xf bound_ctrl:1
.Ltmp22:
	.loc	2 293 36                        ; standard.py:293:36 @[ poly_norm_aot.py:58:27 ]
	s_barrier
	ds_read_b32 v0, v0
.Ltmp23:
	.loc	2 263 15                        ; standard.py:263:15 @[ standard.py:293:36 @[ poly_norm_aot.py:63:27 ] ]
	v_add_f32_dpp v2, v2, v2 row_shr:4 row_mask:0xf bank_mask:0xf bound_ctrl:1
.Ltmp24:
	.loc	2 293 36                        ; standard.py:293:36 @[ poly_norm_aot.py:63:27 ]
	s_waitcnt lgkmcnt(0)
	s_barrier
.Ltmp25:
	.loc	2 263 15                        ; standard.py:263:15 @[ standard.py:293:36 @[ poly_norm_aot.py:63:27 ] ]
	v_add_f32_dpp v2, v2, v2 row_shr:2 row_mask:0xf bank_mask:0xf bound_ctrl:1
	s_nop 1
	v_add_f32_dpp v2, v2, v2 row_shr:1 row_mask:0xf bank_mask:0xf bound_ctrl:1
.Ltmp26:
	.loc	2 293 36                        ; standard.py:293:36 @[ poly_norm_aot.py:63:27 ]
	v_mov_b32_e32 v20, v2
	s_nop 1
	v_mov_b32_dpp v20, v20 row_bcast:15 row_mask:0xa bank_mask:0xf bound_ctrl:1
.Ltmp27:
	.loc	2 263 15                        ; standard.py:263:15 @[ standard.py:293:36 @[ poly_norm_aot.py:63:27 ] ]
	v_add_f32_e32 v2, v2, v20
	s_nop 1
	v_add_f32_dpp v2, v2, v2 row_bcast:31 row_mask:0xf bank_mask:0xf bound_ctrl:1
.Ltmp28:
	.loc	2 293 36                        ; standard.py:293:36 @[ poly_norm_aot.py:63:27 ]
	s_nop 0
	v_readlane_b32 s20, v2, 63
	s_and_saveexec_b64 s[8:9], vcc
; %bb.7:
	v_mov_b32_e32 v2, s5
	v_mov_b32_e32 v20, s20
	ds_write_b32 v2, v20
.Ltmp29:
; %bb.8:
	.loc	2 0 36 is_stmt 0                ; standard.py:0:36
	s_or_b64 exec, exec, s[8:9]
	.loc	1 63 27 is_stmt 1               ; poly_norm_aot.py:63:27
	v_mov_b32_e32 v2, 0
.Ltmp30:
	.loc	2 293 36                        ; standard.py:293:36 @[ poly_norm_aot.py:63:27 ]
	s_waitcnt lgkmcnt(0)
	s_barrier
	s_and_saveexec_b64 s[8:9], s[6:7]
; %bb.9:
	ds_read_b32 v2, v1
; %bb.10:
	.loc	2 0 36 is_stmt 0                ; standard.py:0:36
	s_or_b64 exec, exec, s[8:9]
	.loc	2 293 36                        ; standard.py:293:36 @[ poly_norm_aot.py:63:27 ]
	s_waitcnt lgkmcnt(0)
	v_mov_b32_e32 v20, v2
	s_nop 1
	v_mov_b32_dpp v20, v20 quad_perm:[2,3,0,1] row_mask:0xf bank_mask:0xf
.Ltmp31:
	.loc	2 263 15 is_stmt 1              ; standard.py:263:15 @[ standard.py:293:36 @[ poly_norm_aot.py:63:27 ] ]
	v_add_f32_e32 v2, v2, v20
.Ltmp32:
	.loc	2 293 36                        ; standard.py:293:36 @[ poly_norm_aot.py:63:27 ]
	v_mov_b32_e32 v20, v2
	s_nop 1
	v_mov_b32_dpp v20, v20 quad_perm:[1,0,3,2] row_mask:0xf bank_mask:0xf
	s_and_saveexec_b64 s[8:9], s[18:19]
; %bb.11:
	.loc	2 0 36 is_stmt 0                ; standard.py:0:36
	v_add_f32_e32 v2, v2, v20
	.loc	2 293 36                        ; standard.py:293:36 @[ poly_norm_aot.py:63:27 ]
	ds_write_b32 v1, v2
.Ltmp33:
; %bb.12:
	.loc	2 0 36                          ; standard.py:0:36
	s_or_b64 exec, exec, s[8:9]
.Ltmp34:
	.loc	2 263 15 is_stmt 1              ; standard.py:263:15 @[ standard.py:293:36 @[ poly_norm_aot.py:68:27 ] ]
	v_add_f32_e32 v20, v16, v17
	v_add_f32_e32 v20, v20, v18
	;; [unrolled: 1-line block ×3, first 2 shown]
.Ltmp35:
	.loc	2 293 36                        ; standard.py:293:36 @[ poly_norm_aot.py:63:27 ]
	v_mov_b32_e32 v2, 0
	s_waitcnt lgkmcnt(0)
.Ltmp36:
	.loc	2 263 15                        ; standard.py:263:15 @[ standard.py:293:36 @[ poly_norm_aot.py:68:27 ] ]
	v_add_f32_dpp v20, v20, v20 row_shr:8 row_mask:0xf bank_mask:0xf bound_ctrl:1
.Ltmp37:
	.loc	2 293 36                        ; standard.py:293:36 @[ poly_norm_aot.py:63:27 ]
	s_barrier
	ds_read_b32 v2, v2
.Ltmp38:
	.loc	2 263 15                        ; standard.py:263:15 @[ standard.py:293:36 @[ poly_norm_aot.py:68:27 ] ]
	v_add_f32_dpp v20, v20, v20 row_shr:4 row_mask:0xf bank_mask:0xf bound_ctrl:1
.Ltmp39:
	.loc	2 293 36                        ; standard.py:293:36 @[ poly_norm_aot.py:68:27 ]
	s_waitcnt lgkmcnt(0)
	s_barrier
.Ltmp40:
	.loc	2 263 15                        ; standard.py:263:15 @[ standard.py:293:36 @[ poly_norm_aot.py:68:27 ] ]
	v_add_f32_dpp v20, v20, v20 row_shr:2 row_mask:0xf bank_mask:0xf bound_ctrl:1
	s_nop 1
	v_add_f32_dpp v20, v20, v20 row_shr:1 row_mask:0xf bank_mask:0xf bound_ctrl:1
.Ltmp41:
	.loc	2 293 36                        ; standard.py:293:36 @[ poly_norm_aot.py:68:27 ]
	v_mov_b32_e32 v21, v20
	s_nop 1
	v_mov_b32_dpp v21, v21 row_bcast:15 row_mask:0xa bank_mask:0xf bound_ctrl:1
.Ltmp42:
	.loc	2 263 15                        ; standard.py:263:15 @[ standard.py:293:36 @[ poly_norm_aot.py:68:27 ] ]
	v_add_f32_e32 v20, v20, v21
	s_nop 1
	v_add_f32_dpp v20, v20, v20 row_bcast:31 row_mask:0xf bank_mask:0xf bound_ctrl:1
.Ltmp43:
	.loc	2 293 36                        ; standard.py:293:36 @[ poly_norm_aot.py:68:27 ]
	s_nop 0
	v_readlane_b32 s20, v20, 63
	s_and_saveexec_b64 s[8:9], vcc
; %bb.13:
	v_mov_b32_e32 v20, s5
	v_mov_b32_e32 v21, s20
	ds_write_b32 v20, v21
.Ltmp44:
; %bb.14:
	.loc	2 0 36 is_stmt 0                ; standard.py:0:36
	s_or_b64 exec, exec, s[8:9]
	s_load_dwordx2 s[8:9], s[10:11], 0x0
	.loc	1 68 27 is_stmt 1               ; poly_norm_aot.py:68:27
	v_mov_b32_e32 v20, 0
.Ltmp45:
	.loc	2 293 36                        ; standard.py:293:36 @[ poly_norm_aot.py:68:27 ]
	s_waitcnt lgkmcnt(0)
	s_barrier
	s_and_saveexec_b64 s[20:21], s[6:7]
; %bb.15:
	ds_read_b32 v20, v1
; %bb.16:
	.loc	2 0 36 is_stmt 0                ; standard.py:0:36
	s_or_b64 exec, exec, s[20:21]
	s_load_dword s5, s[10:11], 0x8
	s_load_dword s20, s[0:1], 0x40
	.loc	2 293 36                        ; standard.py:293:36 @[ poly_norm_aot.py:68:27 ]
	s_waitcnt lgkmcnt(0)
	v_mov_b32_e32 v21, v20
.Ltmp46:
	.loc	1 0 0                           ; poly_norm_aot.py:0
	s_lshr_b32 s11, s22, 6
.Ltmp47:
	.loc	2 293 36                        ; standard.py:293:36 @[ poly_norm_aot.py:68:27 ]
	s_nop 0
	v_mov_b32_dpp v21, v21 quad_perm:[2,3,0,1] row_mask:0xf bank_mask:0xf
.Ltmp48:
	.loc	2 263 15 is_stmt 1              ; standard.py:263:15 @[ standard.py:293:36 @[ poly_norm_aot.py:68:27 ] ]
	v_add_f32_e32 v20, v20, v21
.Ltmp49:
	.loc	2 293 36                        ; standard.py:293:36 @[ poly_norm_aot.py:68:27 ]
	v_mov_b32_e32 v21, v20
	s_nop 1
	v_mov_b32_dpp v21, v21 quad_perm:[1,0,3,2] row_mask:0xf bank_mask:0xf
	s_and_saveexec_b64 s[6:7], s[18:19]
; %bb.17:
	.loc	2 0 36 is_stmt 0                ; standard.py:0:36
	v_add_f32_e32 v20, v20, v21
	.loc	2 293 36                        ; standard.py:293:36 @[ poly_norm_aot.py:68:27 ]
	ds_write_b32 v1, v20
.Ltmp50:
; %bb.18:
	.loc	2 0 36                          ; standard.py:0:36
	s_or_b64 exec, exec, s[6:7]
	.loc	1 58 54 is_stmt 1               ; poly_norm_aot.py:58:54
	v_cvt_f32_i32_e32 v21, s17
	.loc	1 0 0 is_stmt 0                 ; poly_norm_aot.py:0
	s_load_dword s10, s[12:13], 0x0
.Ltmp51:
	.loc	2 293 36 is_stmt 1              ; standard.py:293:36 @[ poly_norm_aot.py:68:27 ]
	s_waitcnt lgkmcnt(0)
	s_barrier
.Ltmp52:
	.loc	1 63 54                         ; poly_norm_aot.py:63:54
	v_div_scale_f32 v1, s[6:7], v21, v21, v2
	v_rcp_f32_e32 v20, v1
	v_div_scale_f32 v22, vcc, v2, v21, v2
	.loc	1 73 27                         ; poly_norm_aot.py:73:27
	v_or_b32_e32 v15, s11, v15
	.loc	1 63 54                         ; poly_norm_aot.py:63:54
	v_fma_f32 v23, -v1, v20, 1.0
	v_fmac_f32_e32 v20, v23, v20
	v_mul_f32_e32 v23, v22, v20
	v_fma_f32 v24, -v1, v23, v22
	v_fmac_f32_e32 v23, v24, v20
	v_fma_f32 v1, -v1, v23, v22
	.loc	1 58 54                         ; poly_norm_aot.py:58:54
	v_div_scale_f32 v22, s[6:7], v21, v21, v0
	.loc	1 63 54                         ; poly_norm_aot.py:63:54
	v_div_fmas_f32 v1, v1, v20, v23
	.loc	1 58 54                         ; poly_norm_aot.py:58:54
	v_rcp_f32_e32 v23, v22
	.loc	1 63 54                         ; poly_norm_aot.py:63:54
	v_div_fixup_f32 v1, v1, v21, v2
	.loc	1 64 35                         ; poly_norm_aot.py:64:35
	v_add_f32_e32 v1, s20, v1
	.loc	1 64 19 is_stmt 0               ; poly_norm_aot.py:64:19
	v_rsq_f32_e32 v1, v1
	.loc	1 58 54 is_stmt 1               ; poly_norm_aot.py:58:54
	v_fma_f32 v2, -v22, v23, 1.0
	v_fmac_f32_e32 v23, v2, v23
	v_div_scale_f32 v2, vcc, v0, v21, v0
	v_mul_f32_e32 v24, v2, v23
	v_fma_f32 v20, -v22, v24, v2
	v_fmac_f32_e32 v24, v20, v23
.Ltmp53:
	.loc	2 293 36                        ; standard.py:293:36 @[ poly_norm_aot.py:68:27 ]
	v_mov_b32_e32 v20, 0
	ds_read_b32 v25, v20
.Ltmp54:
	.loc	1 58 54                         ; poly_norm_aot.py:58:54
	v_fma_f32 v2, -v22, v24, v2
	v_div_fmas_f32 v2, v2, v23, v24
	v_div_fixup_f32 v0, v2, v21, v0
	.loc	1 59 35                         ; poly_norm_aot.py:59:35
	v_add_f32_e32 v0, s20, v0
	.loc	1 68 54                         ; poly_norm_aot.py:68:54
	s_waitcnt lgkmcnt(0)
	v_div_scale_f32 v22, s[6:7], v21, v21, v25
	v_rcp_f32_e32 v23, v22
	.loc	1 59 19                         ; poly_norm_aot.py:59:19
	v_rsq_f32_e32 v0, v0
	.loc	1 68 54                         ; poly_norm_aot.py:68:54
	v_fma_f32 v2, -v22, v23, 1.0
	v_fmac_f32_e32 v23, v2, v23
	v_div_scale_f32 v2, vcc, v25, v21, v25
	v_mul_f32_e32 v24, v2, v23
	v_fma_f32 v26, -v22, v24, v2
	v_fmac_f32_e32 v24, v26, v23
	v_fma_f32 v2, -v22, v24, v2
	v_div_fmas_f32 v2, v2, v23, v24
	v_div_fixup_f32 v2, v2, v21, v25
	.loc	1 69 35                         ; poly_norm_aot.py:69:35
	v_add_f32_e32 v2, s20, v2
	.loc	1 69 19 is_stmt 0               ; poly_norm_aot.py:69:19
	v_rsq_f32_e32 v2, v2
	.loc	1 73 27 is_stmt 1               ; poly_norm_aot.py:73:27
	v_cmp_eq_u32_e32 vcc, 0, v15
	s_and_saveexec_b64 s[6:7], vcc
	s_cbranch_execz .LBB0_20
; %bb.19:                               ; %.critedge
	.loc	1 0 27 is_stmt 0                ; poly_norm_aot.py:0:27
	s_load_dword s0, s[0:1], 0x38
	.loc	1 41 26 is_stmt 1               ; poly_norm_aot.py:41:26
	s_waitcnt lgkmcnt(0)
	s_mul_hi_i32 s1, s0, s16
	s_mul_i32 s0, s0, s16
	.loc	1 41 16 is_stmt 0               ; poly_norm_aot.py:41:16
	s_lshl_b64 s[0:1], s[0:1], 2
	s_add_u32 s0, s14, s0
	s_addc_u32 s1, s15, s1
	.loc	1 75 27 is_stmt 1               ; poly_norm_aot.py:75:27
	global_store_dwordx3 v20, v[0:2], s[0:1]
.LBB0_20:                               ; %.critedge1
	.loc	1 0 27 is_stmt 0                ; poly_norm_aot.py:0:27
	s_or_b64 exec, exec, s[6:7]
	.loc	1 60 23 is_stmt 1               ; poly_norm_aot.py:60:23
	v_mov_b32_e32 v20, v0
	v_mov_b32_e32 v21, v2
	v_pk_mul_f32 v[4:5], v[4:5], v[20:21]
	.loc	1 39 23                         ; poly_norm_aot.py:39:23
	s_mul_hi_i32 s1, s4, s16
	s_mul_i32 s0, s4, s16
	.loc	1 78 17                         ; poly_norm_aot.py:78:17
	s_mov_b32 s4, s8
	.loc	1 60 23                         ; poly_norm_aot.py:60:23
	v_pk_mul_f32 v[10:11], v[10:11], v[20:21]
	v_pk_mul_f32 v[8:9], v[8:9], v[20:21]
	;; [unrolled: 1-line block ×3, first 2 shown]
	.loc	1 65 23                         ; poly_norm_aot.py:65:23
	v_mul_f32_e32 v2, v19, v1
	v_mul_f32_e32 v15, v18, v1
	;; [unrolled: 1-line block ×4, first 2 shown]
	.loc	1 39 13                         ; poly_norm_aot.py:39:13
	s_lshl_b64 s[0:1], s[0:1], 2
	.loc	1 78 17                         ; poly_norm_aot.py:78:17
	v_pk_mul_f32 v[0:1], s[4:5], v[4:5]
	.loc	1 39 13                         ; poly_norm_aot.py:39:13
	s_add_u32 s0, s2, s0
	.loc	1 78 27                         ; poly_norm_aot.py:78:27
	v_fma_f32 v0, s9, v16, v0
	.loc	1 78 17 is_stmt 0               ; poly_norm_aot.py:78:17
	v_pk_mul_f32 v[4:5], s[4:5], v[6:7]
	v_pk_mul_f32 v[6:7], s[4:5], v[8:9]
	;; [unrolled: 1-line block ×3, first 2 shown]
	.loc	1 39 13 is_stmt 1               ; poly_norm_aot.py:39:13
	s_addc_u32 s1, s3, s1
	.loc	1 78 27                         ; poly_norm_aot.py:78:27
	v_fma_f32 v4, s9, v17, v4
	v_fma_f32 v6, s9, v15, v6
	;; [unrolled: 1-line block ×3, first 2 shown]
	.loc	1 78 42 is_stmt 0               ; poly_norm_aot.py:78:42
	v_add_f32_e32 v0, v0, v1
	v_add_f32_e32 v1, v4, v5
	;; [unrolled: 1-line block ×4, first 2 shown]
	.loc	1 78 57                         ; poly_norm_aot.py:78:57
	v_add_f32_e32 v0, s10, v0
	.loc	1 81 34 is_stmt 1               ; poly_norm_aot.py:81:34
	s_and_b32 s1, s1, 0xffff
	s_mov_b32 s3, 0x27000
	s_mov_b32 s2, 0x7ffffffe
	.loc	1 78 57                         ; poly_norm_aot.py:78:57
	v_add_f32_e32 v1, s10, v1
	v_add_f32_e32 v4, s10, v4
	;; [unrolled: 1-line block ×3, first 2 shown]
	.loc	1 81 34                         ; poly_norm_aot.py:81:34
	buffer_store_dword v0, v3, s[0:3], 0 offen
	buffer_store_dword v1, v12, s[0:3], 0 offen
	;; [unrolled: 1-line block ×4, first 2 shown]
	.loc	1 81 4 is_stmt 0                ; poly_norm_aot.py:81:4
	s_endpgm
.Ltmp55:
	.section	.rodata,"a",@progbits
	.p2align	6, 0x0
	.amdhsa_kernel _poly_norm_forward_kernel
		.amdhsa_group_segment_fixed_size 0
		.amdhsa_private_segment_fixed_size 0
		.amdhsa_kernarg_size 88
		.amdhsa_user_sgpr_count 16
		.amdhsa_user_sgpr_dispatch_ptr 0
		.amdhsa_user_sgpr_queue_ptr 0
		.amdhsa_user_sgpr_kernarg_segment_ptr 1
		.amdhsa_user_sgpr_dispatch_id 0
		.amdhsa_user_sgpr_kernarg_preload_length 14
		.amdhsa_user_sgpr_kernarg_preload_offset 0
		.amdhsa_user_sgpr_private_segment_size 0
		.amdhsa_uses_dynamic_stack 0
		.amdhsa_enable_private_segment 0
		.amdhsa_system_sgpr_workgroup_id_x 1
		.amdhsa_system_sgpr_workgroup_id_y 0
		.amdhsa_system_sgpr_workgroup_id_z 0
		.amdhsa_system_sgpr_workgroup_info 0
		.amdhsa_system_vgpr_workitem_id 0
		.amdhsa_next_free_vgpr 27
		.amdhsa_next_free_sgpr 28
		.amdhsa_accum_offset 28
		.amdhsa_reserve_vcc 1
		.amdhsa_reserve_xnack_mask 1
		.amdhsa_float_round_mode_32 0
		.amdhsa_float_round_mode_16_64 0
		.amdhsa_float_denorm_mode_32 3
		.amdhsa_float_denorm_mode_16_64 3
		.amdhsa_dx10_clamp 1
		.amdhsa_ieee_mode 1
		.amdhsa_fp16_overflow 0
		.amdhsa_tg_split 0
		.amdhsa_exception_fp_ieee_invalid_op 0
		.amdhsa_exception_fp_denorm_src 0
		.amdhsa_exception_fp_ieee_div_zero 0
		.amdhsa_exception_fp_ieee_overflow 0
		.amdhsa_exception_fp_ieee_underflow 0
		.amdhsa_exception_fp_ieee_inexact 0
		.amdhsa_exception_int_div_zero 0
	.end_amdhsa_kernel
	.text
.Lfunc_end0:
	.size	_poly_norm_forward_kernel, .Lfunc_end0-_poly_norm_forward_kernel
	.cfi_endproc
                                        ; -- End function
	.set _poly_norm_forward_kernel.num_vgpr, 27
	.set _poly_norm_forward_kernel.num_agpr, 0
	.set _poly_norm_forward_kernel.numbered_sgpr, 28
	.set _poly_norm_forward_kernel.num_named_barrier, 0
	.set _poly_norm_forward_kernel.private_seg_size, 0
	.set _poly_norm_forward_kernel.uses_vcc, 1
	.set _poly_norm_forward_kernel.uses_flat_scratch, 0
	.set _poly_norm_forward_kernel.has_dyn_sized_stack, 0
	.set _poly_norm_forward_kernel.has_recursion, 0
	.set _poly_norm_forward_kernel.has_indirect_call, 0
	.section	.AMDGPU.csdata,"",@progbits
; Kernel info:
; codeLenInByte = 1820
; TotalNumSgprs: 34
; NumVgprs: 27
; NumAgprs: 0
; TotalNumVgprs: 27
; ScratchSize: 0
; MemoryBound: 0
; FloatMode: 240
; IeeeMode: 1
; LDSByteSize: 0 bytes/workgroup (compile time only)
; SGPRBlocks: 4
; VGPRBlocks: 3
; NumSGPRsForWavesPerEU: 34
; NumVGPRsForWavesPerEU: 27
; AccumOffset: 28
; Occupancy: 8
; WaveLimiterHint : 0
; COMPUTE_PGM_RSRC2:SCRATCH_EN: 0
; COMPUTE_PGM_RSRC2:USER_SGPR: 16
; COMPUTE_PGM_RSRC2:TRAP_HANDLER: 0
; COMPUTE_PGM_RSRC2:TGID_X_EN: 1
; COMPUTE_PGM_RSRC2:TGID_Y_EN: 0
; COMPUTE_PGM_RSRC2:TGID_Z_EN: 0
; COMPUTE_PGM_RSRC2:TIDIG_COMP_CNT: 0
; COMPUTE_PGM_RSRC3_GFX90A:ACCUM_OFFSET: 6
; COMPUTE_PGM_RSRC3_GFX90A:TG_SPLIT: 0
	.text
	.p2alignl 6, 3212836864
	.fill 256, 4, 3212836864
	.section	.AMDGPU.gpr_maximums,"",@progbits
	.set amdgpu.max_num_vgpr, 0
	.set amdgpu.max_num_agpr, 0
	.set amdgpu.max_num_sgpr, 0
	.set amdgpu.max_num_named_barrier, 0
	.text
	.section	.debug_abbrev,"",@progbits
	.byte	1                               ; Abbreviation Code
	.byte	17                              ; DW_TAG_compile_unit
	.byte	1                               ; DW_CHILDREN_yes
	.byte	37                              ; DW_AT_producer
	.byte	14                              ; DW_FORM_strp
	.byte	19                              ; DW_AT_language
	.byte	5                               ; DW_FORM_data2
	.byte	3                               ; DW_AT_name
	.byte	14                              ; DW_FORM_strp
	.byte	16                              ; DW_AT_stmt_list
	.byte	23                              ; DW_FORM_sec_offset
	.byte	27                              ; DW_AT_comp_dir
	.byte	14                              ; DW_FORM_strp
	.byte	17                              ; DW_AT_low_pc
	.byte	1                               ; DW_FORM_addr
	.byte	18                              ; DW_AT_high_pc
	.byte	6                               ; DW_FORM_data4
	.byte	0                               ; EOM(1)
	.byte	0                               ; EOM(2)
	.byte	2                               ; Abbreviation Code
	.byte	46                              ; DW_TAG_subprogram
	.byte	0                               ; DW_CHILDREN_no
	.byte	3                               ; DW_AT_name
	.byte	14                              ; DW_FORM_strp
	.byte	32                              ; DW_AT_inline
	.byte	11                              ; DW_FORM_data1
	.byte	0                               ; EOM(1)
	.byte	0                               ; EOM(2)
	.byte	3                               ; Abbreviation Code
	.byte	46                              ; DW_TAG_subprogram
	.byte	1                               ; DW_CHILDREN_yes
	.byte	17                              ; DW_AT_low_pc
	.byte	1                               ; DW_FORM_addr
	.byte	18                              ; DW_AT_high_pc
	.byte	6                               ; DW_FORM_data4
	.byte	49                              ; DW_AT_abstract_origin
	.byte	19                              ; DW_FORM_ref4
	.byte	0                               ; EOM(1)
	.byte	0                               ; EOM(2)
	.byte	4                               ; Abbreviation Code
	.byte	29                              ; DW_TAG_inlined_subroutine
	.byte	1                               ; DW_CHILDREN_yes
	.byte	49                              ; DW_AT_abstract_origin
	.byte	19                              ; DW_FORM_ref4
	.byte	85                              ; DW_AT_ranges
	.byte	23                              ; DW_FORM_sec_offset
	.byte	88                              ; DW_AT_call_file
	.byte	11                              ; DW_FORM_data1
	.byte	89                              ; DW_AT_call_line
	.byte	11                              ; DW_FORM_data1
	.byte	87                              ; DW_AT_call_column
	.byte	11                              ; DW_FORM_data1
	.byte	0                               ; EOM(1)
	.byte	0                               ; EOM(2)
	.byte	5                               ; Abbreviation Code
	.byte	29                              ; DW_TAG_inlined_subroutine
	.byte	0                               ; DW_CHILDREN_no
	.byte	49                              ; DW_AT_abstract_origin
	.byte	19                              ; DW_FORM_ref4
	.byte	85                              ; DW_AT_ranges
	.byte	23                              ; DW_FORM_sec_offset
	.byte	88                              ; DW_AT_call_file
	.byte	11                              ; DW_FORM_data1
	.byte	89                              ; DW_AT_call_line
	.byte	5                               ; DW_FORM_data2
	.byte	87                              ; DW_AT_call_column
	.byte	11                              ; DW_FORM_data1
	.byte	0                               ; EOM(1)
	.byte	0                               ; EOM(2)
	;; [unrolled: 1-line block ×3, first 2 shown]
	.section	.debug_info,"",@progbits
.Lcu_begin0:
	.long	.Ldebug_info_end0-.Ldebug_info_start0 ; Length of Unit
.Ldebug_info_start0:
	.short	4                               ; DWARF version number
	.long	.debug_abbrev                   ; Offset Into Abbrev. Section
	.byte	8                               ; Address Size (in bytes)
	.byte	1                               ; Abbrev [1] 0xb:0x86 DW_TAG_compile_unit
	.long	.Linfo_string0                  ; DW_AT_producer
	.short	2                               ; DW_AT_language
	.long	.Linfo_string1                  ; DW_AT_name
	.long	.Lline_table_start0             ; DW_AT_stmt_list
	.long	.Linfo_string2                  ; DW_AT_comp_dir
	.quad	.Lfunc_begin0                   ; DW_AT_low_pc
	.long	.Lfunc_end0-.Lfunc_begin0       ; DW_AT_high_pc
	.byte	2                               ; Abbrev [2] 0x2a:0x6 DW_TAG_subprogram
	.long	.Linfo_string3                  ; DW_AT_name
	.byte	1                               ; DW_AT_inline
	.byte	3                               ; Abbrev [3] 0x30:0x60 DW_TAG_subprogram
	.quad	.Lfunc_begin0                   ; DW_AT_low_pc
	.long	.Lfunc_end0-.Lfunc_begin0       ; DW_AT_high_pc
	.long	42                              ; DW_AT_abstract_origin
	.byte	4                               ; Abbrev [4] 0x41:0x1a DW_TAG_inlined_subroutine
	.long	42                              ; DW_AT_abstract_origin
	.long	.Ldebug_ranges0                 ; DW_AT_ranges
	.byte	1                               ; DW_AT_call_file
	.byte	58                              ; DW_AT_call_line
	.byte	27                              ; DW_AT_call_column
	.byte	5                               ; Abbrev [5] 0x4d:0xd DW_TAG_inlined_subroutine
	.long	42                              ; DW_AT_abstract_origin
	.long	.Ldebug_ranges1                 ; DW_AT_ranges
	.byte	2                               ; DW_AT_call_file
	.short	293                             ; DW_AT_call_line
	.byte	36                              ; DW_AT_call_column
	.byte	0                               ; End Of Children Mark
	.byte	4                               ; Abbrev [4] 0x5b:0x1a DW_TAG_inlined_subroutine
	.long	42                              ; DW_AT_abstract_origin
	.long	.Ldebug_ranges2                 ; DW_AT_ranges
	.byte	1                               ; DW_AT_call_file
	.byte	63                              ; DW_AT_call_line
	.byte	27                              ; DW_AT_call_column
	.byte	5                               ; Abbrev [5] 0x67:0xd DW_TAG_inlined_subroutine
	.long	42                              ; DW_AT_abstract_origin
	.long	.Ldebug_ranges3                 ; DW_AT_ranges
	.byte	2                               ; DW_AT_call_file
	.short	293                             ; DW_AT_call_line
	.byte	36                              ; DW_AT_call_column
	.byte	0                               ; End Of Children Mark
	;; [unrolled: 13-line block ×3, first 2 shown]
	.byte	0                               ; End Of Children Mark
	.byte	0                               ; End Of Children Mark
.Ldebug_info_end0:
	.section	.debug_ranges,"",@progbits
.Ldebug_ranges0:
	.quad	.Ltmp2-.Lfunc_begin0
	.quad	.Ltmp3-.Lfunc_begin0
	;; [unrolled: 1-line block ×16, first 2 shown]
	.quad	0
	.quad	0
.Ldebug_ranges1:
	.quad	.Ltmp6-.Lfunc_begin0
	.quad	.Ltmp7-.Lfunc_begin0
	;; [unrolled: 1-line block ×10, first 2 shown]
	.quad	0
	.quad	0
.Ldebug_ranges2:
	.quad	.Ltmp19-.Lfunc_begin0
	.quad	.Ltmp20-.Lfunc_begin0
	;; [unrolled: 1-line block ×12, first 2 shown]
	.quad	0
	.quad	0
.Ldebug_ranges3:
	.quad	.Ltmp19-.Lfunc_begin0
	.quad	.Ltmp20-.Lfunc_begin0
	;; [unrolled: 1-line block ×12, first 2 shown]
	.quad	0
	.quad	0
.Ldebug_ranges4:
	.quad	.Ltmp34-.Lfunc_begin0
	.quad	.Ltmp35-.Lfunc_begin0
	;; [unrolled: 1-line block ×14, first 2 shown]
	.quad	0
	.quad	0
.Ldebug_ranges5:
	.quad	.Ltmp34-.Lfunc_begin0
	.quad	.Ltmp35-.Lfunc_begin0
	;; [unrolled: 1-line block ×12, first 2 shown]
	.quad	0
	.quad	0
	.section	.debug_str,"MS",@progbits,1
.Linfo_string0:
	.asciz	"triton"                        ; string offset=0
.Linfo_string1:
	.asciz	"poly_norm_aot.py"              ; string offset=7
.Linfo_string2:
	.asciz	"/root/src/amdgpu-assembly/repos/linkedin__Liger-Kernel/triton_aot_kernels" ; string offset=24
.Linfo_string3:
	.asciz	"_poly_norm_forward_kernel"     ; string offset=98
	.section	".note.GNU-stack","",@progbits
	.amdgpu_metadata
---
amdhsa.kernels:
  - .agpr_count:     0
    .args:
      - .address_space:  global
        .offset:         0
        .size:           8
        .value_kind:     global_buffer
      - .offset:         8
        .size:           4
        .value_kind:     by_value
      - .address_space:  global
        .offset:         16
        .size:           8
        .value_kind:     global_buffer
      - .offset:         24
        .size:           4
        .value_kind:     by_value
      - .address_space:  global
        .offset:         32
        .size:           8
        .value_kind:     global_buffer
      - .address_space:  global
        .offset:         40
        .size:           8
        .value_kind:     global_buffer
      - .address_space:  global
        .offset:         48
        .size:           8
        .value_kind:     global_buffer
      - .offset:         56
        .size:           4
        .value_kind:     by_value
      - .offset:         60
        .size:           4
        .value_kind:     by_value
      - .offset:         64
        .size:           4
        .value_kind:     by_value
      - .address_space:  global
        .offset:         72
        .size:           8
        .value_kind:     global_buffer
      - .address_space:  global
        .offset:         80
        .size:           8
        .value_kind:     global_buffer
    .group_segment_fixed_size: 0
    .kernarg_segment_align: 8
    .kernarg_segment_size: 88
    .max_flat_workgroup_size: 256
    .name:           _poly_norm_forward_kernel
    .private_segment_fixed_size: 0
    .sgpr_count:     34
    .sgpr_spill_count: 0
    .symbol:         _poly_norm_forward_kernel.kd
    .uniform_work_group_size: 1
    .uses_dynamic_stack: false
    .vgpr_count:     27
    .vgpr_spill_count: 0
    .wavefront_size: 64
amdhsa.target:   amdgcn-amd-amdhsa--gfx950
amdhsa.version:
  - 1
  - 2
...

	.end_amdgpu_metadata
	.section	.debug_line,"",@progbits
.Lline_table_start0:
